;; amdgpu-corpus repo=ROCm/rocFFT kind=compiled arch=gfx906 opt=O3
	.text
	.amdgcn_target "amdgcn-amd-amdhsa--gfx906"
	.amdhsa_code_object_version 6
	.protected	fft_rtc_back_len1584_factors_4_2_2_11_3_3_wgs_176_tpt_176_halfLds_half_ip_CI_unitstride_sbrr_dirReg ; -- Begin function fft_rtc_back_len1584_factors_4_2_2_11_3_3_wgs_176_tpt_176_halfLds_half_ip_CI_unitstride_sbrr_dirReg
	.globl	fft_rtc_back_len1584_factors_4_2_2_11_3_3_wgs_176_tpt_176_halfLds_half_ip_CI_unitstride_sbrr_dirReg
	.p2align	8
	.type	fft_rtc_back_len1584_factors_4_2_2_11_3_3_wgs_176_tpt_176_halfLds_half_ip_CI_unitstride_sbrr_dirReg,@function
fft_rtc_back_len1584_factors_4_2_2_11_3_3_wgs_176_tpt_176_halfLds_half_ip_CI_unitstride_sbrr_dirReg: ; @fft_rtc_back_len1584_factors_4_2_2_11_3_3_wgs_176_tpt_176_halfLds_half_ip_CI_unitstride_sbrr_dirReg
; %bb.0:
	s_load_dwordx2 s[12:13], s[4:5], 0x50
	s_load_dwordx4 s[8:11], s[4:5], 0x0
	s_load_dwordx2 s[2:3], s[4:5], 0x18
	v_mul_u32_u24_e32 v1, 0x175, v0
	v_add_u32_sdwa v5, s6, v1 dst_sel:DWORD dst_unused:UNUSED_PAD src0_sel:DWORD src1_sel:WORD_1
	v_mov_b32_e32 v3, 0
	s_waitcnt lgkmcnt(0)
	v_cmp_lt_u64_e64 s[0:1], s[10:11], 2
	v_mov_b32_e32 v1, 0
	v_mov_b32_e32 v6, v3
	s_and_b64 vcc, exec, s[0:1]
	v_mov_b32_e32 v2, 0
	s_cbranch_vccnz .LBB0_8
; %bb.1:
	s_load_dwordx2 s[0:1], s[4:5], 0x10
	s_add_u32 s6, s2, 8
	s_addc_u32 s7, s3, 0
	v_mov_b32_e32 v1, 0
	v_mov_b32_e32 v2, 0
	s_waitcnt lgkmcnt(0)
	s_add_u32 s14, s0, 8
	s_addc_u32 s15, s1, 0
	s_mov_b64 s[16:17], 1
.LBB0_2:                                ; =>This Inner Loop Header: Depth=1
	s_load_dwordx2 s[18:19], s[14:15], 0x0
                                        ; implicit-def: $vgpr7_vgpr8
	s_waitcnt lgkmcnt(0)
	v_or_b32_e32 v4, s19, v6
	v_cmp_ne_u64_e32 vcc, 0, v[3:4]
	s_and_saveexec_b64 s[0:1], vcc
	s_xor_b64 s[20:21], exec, s[0:1]
	s_cbranch_execz .LBB0_4
; %bb.3:                                ;   in Loop: Header=BB0_2 Depth=1
	v_cvt_f32_u32_e32 v4, s18
	v_cvt_f32_u32_e32 v7, s19
	s_sub_u32 s0, 0, s18
	s_subb_u32 s1, 0, s19
	v_mac_f32_e32 v4, 0x4f800000, v7
	v_rcp_f32_e32 v4, v4
	v_mul_f32_e32 v4, 0x5f7ffffc, v4
	v_mul_f32_e32 v7, 0x2f800000, v4
	v_trunc_f32_e32 v7, v7
	v_mac_f32_e32 v4, 0xcf800000, v7
	v_cvt_u32_f32_e32 v7, v7
	v_cvt_u32_f32_e32 v4, v4
	v_mul_lo_u32 v8, s0, v7
	v_mul_hi_u32 v9, s0, v4
	v_mul_lo_u32 v11, s1, v4
	v_mul_lo_u32 v10, s0, v4
	v_add_u32_e32 v8, v9, v8
	v_add_u32_e32 v8, v8, v11
	v_mul_hi_u32 v9, v4, v10
	v_mul_lo_u32 v11, v4, v8
	v_mul_hi_u32 v13, v4, v8
	v_mul_hi_u32 v12, v7, v10
	v_mul_lo_u32 v10, v7, v10
	v_mul_hi_u32 v14, v7, v8
	v_add_co_u32_e32 v9, vcc, v9, v11
	v_addc_co_u32_e32 v11, vcc, 0, v13, vcc
	v_mul_lo_u32 v8, v7, v8
	v_add_co_u32_e32 v9, vcc, v9, v10
	v_addc_co_u32_e32 v9, vcc, v11, v12, vcc
	v_addc_co_u32_e32 v10, vcc, 0, v14, vcc
	v_add_co_u32_e32 v8, vcc, v9, v8
	v_addc_co_u32_e32 v9, vcc, 0, v10, vcc
	v_add_co_u32_e32 v4, vcc, v4, v8
	v_addc_co_u32_e32 v7, vcc, v7, v9, vcc
	v_mul_lo_u32 v8, s0, v7
	v_mul_hi_u32 v9, s0, v4
	v_mul_lo_u32 v10, s1, v4
	v_mul_lo_u32 v11, s0, v4
	v_add_u32_e32 v8, v9, v8
	v_add_u32_e32 v8, v8, v10
	v_mul_lo_u32 v12, v4, v8
	v_mul_hi_u32 v13, v4, v11
	v_mul_hi_u32 v14, v4, v8
	;; [unrolled: 1-line block ×3, first 2 shown]
	v_mul_lo_u32 v11, v7, v11
	v_mul_hi_u32 v9, v7, v8
	v_add_co_u32_e32 v12, vcc, v13, v12
	v_addc_co_u32_e32 v13, vcc, 0, v14, vcc
	v_mul_lo_u32 v8, v7, v8
	v_add_co_u32_e32 v11, vcc, v12, v11
	v_addc_co_u32_e32 v10, vcc, v13, v10, vcc
	v_addc_co_u32_e32 v9, vcc, 0, v9, vcc
	v_add_co_u32_e32 v8, vcc, v10, v8
	v_addc_co_u32_e32 v9, vcc, 0, v9, vcc
	v_add_co_u32_e32 v4, vcc, v4, v8
	v_addc_co_u32_e32 v9, vcc, v7, v9, vcc
	v_mad_u64_u32 v[7:8], s[0:1], v5, v9, 0
	v_mul_hi_u32 v10, v5, v4
	v_add_co_u32_e32 v11, vcc, v10, v7
	v_addc_co_u32_e32 v12, vcc, 0, v8, vcc
	v_mad_u64_u32 v[7:8], s[0:1], v6, v4, 0
	v_mad_u64_u32 v[9:10], s[0:1], v6, v9, 0
	v_add_co_u32_e32 v4, vcc, v11, v7
	v_addc_co_u32_e32 v4, vcc, v12, v8, vcc
	v_addc_co_u32_e32 v7, vcc, 0, v10, vcc
	v_add_co_u32_e32 v4, vcc, v4, v9
	v_addc_co_u32_e32 v9, vcc, 0, v7, vcc
	v_mul_lo_u32 v10, s19, v4
	v_mul_lo_u32 v11, s18, v9
	v_mad_u64_u32 v[7:8], s[0:1], s18, v4, 0
	v_add3_u32 v8, v8, v11, v10
	v_sub_u32_e32 v10, v6, v8
	v_mov_b32_e32 v11, s19
	v_sub_co_u32_e32 v7, vcc, v5, v7
	v_subb_co_u32_e64 v10, s[0:1], v10, v11, vcc
	v_subrev_co_u32_e64 v11, s[0:1], s18, v7
	v_subbrev_co_u32_e64 v10, s[0:1], 0, v10, s[0:1]
	v_cmp_le_u32_e64 s[0:1], s19, v10
	v_cndmask_b32_e64 v12, 0, -1, s[0:1]
	v_cmp_le_u32_e64 s[0:1], s18, v11
	v_cndmask_b32_e64 v11, 0, -1, s[0:1]
	v_cmp_eq_u32_e64 s[0:1], s19, v10
	v_cndmask_b32_e64 v10, v12, v11, s[0:1]
	v_add_co_u32_e64 v11, s[0:1], 2, v4
	v_addc_co_u32_e64 v12, s[0:1], 0, v9, s[0:1]
	v_add_co_u32_e64 v13, s[0:1], 1, v4
	v_addc_co_u32_e64 v14, s[0:1], 0, v9, s[0:1]
	v_subb_co_u32_e32 v8, vcc, v6, v8, vcc
	v_cmp_ne_u32_e64 s[0:1], 0, v10
	v_cmp_le_u32_e32 vcc, s19, v8
	v_cndmask_b32_e64 v10, v14, v12, s[0:1]
	v_cndmask_b32_e64 v12, 0, -1, vcc
	v_cmp_le_u32_e32 vcc, s18, v7
	v_cndmask_b32_e64 v7, 0, -1, vcc
	v_cmp_eq_u32_e32 vcc, s19, v8
	v_cndmask_b32_e32 v7, v12, v7, vcc
	v_cmp_ne_u32_e32 vcc, 0, v7
	v_cndmask_b32_e64 v7, v13, v11, s[0:1]
	v_cndmask_b32_e32 v8, v9, v10, vcc
	v_cndmask_b32_e32 v7, v4, v7, vcc
.LBB0_4:                                ;   in Loop: Header=BB0_2 Depth=1
	s_andn2_saveexec_b64 s[0:1], s[20:21]
	s_cbranch_execz .LBB0_6
; %bb.5:                                ;   in Loop: Header=BB0_2 Depth=1
	v_cvt_f32_u32_e32 v4, s18
	s_sub_i32 s20, 0, s18
	v_rcp_iflag_f32_e32 v4, v4
	v_mul_f32_e32 v4, 0x4f7ffffe, v4
	v_cvt_u32_f32_e32 v4, v4
	v_mul_lo_u32 v7, s20, v4
	v_mul_hi_u32 v7, v4, v7
	v_add_u32_e32 v4, v4, v7
	v_mul_hi_u32 v4, v5, v4
	v_mul_lo_u32 v7, v4, s18
	v_add_u32_e32 v8, 1, v4
	v_sub_u32_e32 v7, v5, v7
	v_subrev_u32_e32 v9, s18, v7
	v_cmp_le_u32_e32 vcc, s18, v7
	v_cndmask_b32_e32 v7, v7, v9, vcc
	v_cndmask_b32_e32 v4, v4, v8, vcc
	v_add_u32_e32 v8, 1, v4
	v_cmp_le_u32_e32 vcc, s18, v7
	v_cndmask_b32_e32 v7, v4, v8, vcc
	v_mov_b32_e32 v8, v3
.LBB0_6:                                ;   in Loop: Header=BB0_2 Depth=1
	s_or_b64 exec, exec, s[0:1]
	v_mul_lo_u32 v4, v8, s18
	v_mul_lo_u32 v11, v7, s19
	v_mad_u64_u32 v[9:10], s[0:1], v7, s18, 0
	s_load_dwordx2 s[0:1], s[6:7], 0x0
	s_add_u32 s16, s16, 1
	v_add3_u32 v4, v10, v11, v4
	v_sub_co_u32_e32 v5, vcc, v5, v9
	v_subb_co_u32_e32 v4, vcc, v6, v4, vcc
	s_waitcnt lgkmcnt(0)
	v_mul_lo_u32 v4, s0, v4
	v_mul_lo_u32 v6, s1, v5
	v_mad_u64_u32 v[1:2], s[0:1], s0, v5, v[1:2]
	s_addc_u32 s17, s17, 0
	s_add_u32 s6, s6, 8
	v_add3_u32 v2, v6, v2, v4
	v_mov_b32_e32 v4, s10
	v_mov_b32_e32 v5, s11
	s_addc_u32 s7, s7, 0
	v_cmp_ge_u64_e32 vcc, s[16:17], v[4:5]
	s_add_u32 s14, s14, 8
	s_addc_u32 s15, s15, 0
	s_cbranch_vccnz .LBB0_9
; %bb.7:                                ;   in Loop: Header=BB0_2 Depth=1
	v_mov_b32_e32 v5, v7
	v_mov_b32_e32 v6, v8
	s_branch .LBB0_2
.LBB0_8:
	v_mov_b32_e32 v8, v6
	v_mov_b32_e32 v7, v5
.LBB0_9:
	s_lshl_b64 s[0:1], s[10:11], 3
	s_add_u32 s0, s2, s0
	s_addc_u32 s1, s3, s1
	s_load_dwordx2 s[2:3], s[0:1], 0x0
	s_load_dwordx2 s[6:7], s[4:5], 0x20
	v_mov_b32_e32 v6, 0
	v_mov_b32_e32 v21, 0
                                        ; implicit-def: $vgpr9
                                        ; implicit-def: $vgpr10
                                        ; implicit-def: $vgpr12
                                        ; implicit-def: $vgpr17
                                        ; implicit-def: $vgpr16
                                        ; implicit-def: $vgpr14
                                        ; implicit-def: $vgpr18
                                        ; implicit-def: $vgpr13
                                        ; implicit-def: $vgpr19
                                        ; implicit-def: $vgpr11
                                        ; implicit-def: $vgpr24
                                        ; implicit-def: $vgpr15
                                        ; implicit-def: $vgpr28
                                        ; implicit-def: $vgpr20
                                        ; implicit-def: $vgpr22
                                        ; implicit-def: $vgpr25
                                        ; implicit-def: $vgpr23
	s_waitcnt lgkmcnt(0)
	v_mad_u64_u32 v[1:2], s[0:1], s2, v7, v[1:2]
	s_mov_b32 s0, 0x1745d18
	v_mul_lo_u32 v3, s2, v8
	v_mul_lo_u32 v4, s3, v7
	v_mul_hi_u32 v5, v0, s0
	v_cmp_gt_u64_e64 s[0:1], s[6:7], v[7:8]
	v_mov_b32_e32 v7, 0
	v_add3_u32 v2, v4, v2, v3
	v_mul_u32_u24_e32 v3, 0xb0, v5
	v_sub_u32_e32 v0, v0, v3
	v_lshlrev_b64 v[2:3], 2, v[1:2]
	v_mov_b32_e32 v1, 0
                                        ; implicit-def: $vgpr4
                                        ; implicit-def: $vgpr5
                                        ; implicit-def: $vgpr8
	s_and_saveexec_b64 s[2:3], s[0:1]
	s_cbranch_execz .LBB0_13
; %bb.10:
	v_mov_b32_e32 v1, 0
	v_mov_b32_e32 v4, s13
	v_add_co_u32_e32 v6, vcc, s12, v2
	v_addc_co_u32_e32 v7, vcc, v4, v3, vcc
	v_lshlrev_b64 v[4:5], 2, v[0:1]
	v_mov_b32_e32 v21, v1
	v_add_co_u32_e32 v4, vcc, v6, v4
	v_addc_co_u32_e32 v5, vcc, v7, v5, vcc
	v_add_co_u32_e32 v6, vcc, 0x1000, v4
	v_addc_co_u32_e32 v7, vcc, 0, v5, vcc
	global_load_dword v9, v[4:5], off
	global_load_dword v20, v[6:7], off offset:1360
	global_load_dword v14, v[6:7], off offset:656
	;; [unrolled: 1-line block ×7, first 2 shown]
	v_cmp_gt_u32_e32 vcc, 44, v0
	v_mov_b32_e32 v7, v1
	v_mov_b32_e32 v6, v1
                                        ; implicit-def: $vgpr23
                                        ; implicit-def: $vgpr25
                                        ; implicit-def: $vgpr22
                                        ; implicit-def: $vgpr8
	s_and_saveexec_b64 s[4:5], vcc
	s_cbranch_execz .LBB0_12
; %bb.11:
	v_add_co_u32_e32 v6, vcc, 0x1000, v4
	v_addc_co_u32_e32 v7, vcc, 0, v5, vcc
	global_load_dword v21, v[4:5], off offset:1408
	global_load_dword v1, v[4:5], off offset:2992
	;; [unrolled: 1-line block ×4, first 2 shown]
	s_waitcnt vmcnt(3)
	v_lshrrev_b32_e32 v6, 16, v21
	s_waitcnt vmcnt(2)
	v_lshrrev_b32_e32 v7, 16, v1
	;; [unrolled: 2-line block ×4, first 2 shown]
.LBB0_12:
	s_or_b64 exec, exec, s[4:5]
	s_waitcnt vmcnt(7)
	v_lshrrev_b32_e32 v4, 16, v9
	s_waitcnt vmcnt(1)
	v_lshrrev_b32_e32 v10, 16, v12
	v_lshrrev_b32_e32 v17, 16, v16
	;; [unrolled: 1-line block ×3, first 2 shown]
	s_waitcnt vmcnt(0)
	v_lshrrev_b32_e32 v18, 16, v13
	v_lshrrev_b32_e32 v19, 16, v11
	;; [unrolled: 1-line block ×4, first 2 shown]
.LBB0_13:
	s_or_b64 exec, exec, s[2:3]
	v_sub_f16_e32 v16, v9, v16
	v_sub_f16_e32 v26, v12, v14
	v_fma_f16 v9, v9, 2.0, -v16
	v_sub_f16_e32 v29, v10, v5
	v_fma_f16 v5, v12, 2.0, -v26
	v_sub_f16_e32 v14, v9, v5
	v_sub_f16_e32 v5, v13, v15
	;; [unrolled: 1-line block ×3, first 2 shown]
	v_fma_f16 v33, v9, 2.0, -v14
	v_fma_f16 v9, v13, 2.0, -v5
	v_sub_f16_e32 v32, v19, v28
	v_fma_f16 v11, v11, 2.0, -v27
	v_add_f16_e32 v35, v16, v29
	v_sub_f16_e32 v11, v9, v11
	v_add_f16_e32 v15, v5, v32
	v_fma_f16 v16, v16, 2.0, -v35
	v_fma_f16 v13, v9, 2.0, -v11
	;; [unrolled: 1-line block ×3, first 2 shown]
	v_sub_f16_e32 v12, v21, v22
	v_sub_f16_e32 v30, v1, v23
	v_sub_f16_e32 v34, v7, v25
	v_add_u32_e32 v25, 0xb0, v0
	v_fma_f16 v9, v21, 2.0, -v12
	v_fma_f16 v1, v1, 2.0, -v30
	v_pack_b32_f16 v16, v33, v16
	v_lshl_add_u32 v33, v25, 3, 0
	v_pack_b32_f16 v11, v11, v15
	v_pack_b32_f16 v13, v13, v20
	v_sub_f16_e32 v5, v9, v1
	v_add_f16_e32 v1, v12, v34
	ds_write2_b32 v33, v13, v11 offset1:1
	v_add_u32_e32 v11, 0x160, v0
	v_fma_f16 v9, v9, 2.0, -v5
	v_fma_f16 v12, v12, 2.0, -v1
	v_lshl_add_u32 v31, v0, 3, 0
	v_pack_b32_f16 v14, v14, v35
	v_cmp_gt_u32_e64 s[2:3], 44, v0
	v_lshl_add_u32 v28, v11, 3, 0
	ds_write2_b32 v31, v16, v14 offset1:1
	s_and_saveexec_b64 s[4:5], s[2:3]
	s_cbranch_execz .LBB0_15
; %bb.14:
	s_mov_b32 s6, 0x5040100
	v_perm_b32 v1, v1, v5, s6
	v_perm_b32 v13, v12, v9, s6
	ds_write2_b32 v28, v13, v1 offset1:1
.LBB0_15:
	s_or_b64 exec, exec, s[4:5]
	v_mad_i32_i24 v1, v0, -6, v31
	s_waitcnt lgkmcnt(0)
	s_barrier
	ds_read_u16 v20, v1
	ds_read_u16 v21, v1 offset:352
	ds_read_u16 v22, v1 offset:704
	;; [unrolled: 1-line block ×7, first 2 shown]
	s_movk_i32 s4, 0x58
	v_cmp_gt_u32_e32 vcc, s4, v0
	s_and_saveexec_b64 s[4:5], vcc
	s_cbranch_execz .LBB0_17
; %bb.16:
	ds_read_u16 v9, v1 offset:1408
	ds_read_u16 v12, v1 offset:2992
.LBB0_17:
	s_or_b64 exec, exec, s[4:5]
	v_sub_f16_e32 v17, v4, v17
	v_fma_f16 v4, v4, 2.0, -v17
	v_fma_f16 v10, v10, 2.0, -v29
	v_sub_f16_e32 v10, v4, v10
	v_fma_f16 v29, v4, 2.0, -v10
	v_sub_f16_e32 v26, v17, v26
	v_sub_f16_e32 v4, v18, v24
	v_fma_f16 v35, v17, 2.0, -v26
	v_fma_f16 v17, v18, 2.0, -v4
	v_fma_f16 v18, v19, 2.0, -v32
	v_sub_f16_e32 v27, v4, v27
	v_sub_f16_e32 v19, v6, v8
	v_fma_f16 v32, v4, 2.0, -v27
	v_fma_f16 v4, v6, 2.0, -v19
	;; [unrolled: 5-line block ×3, first 2 shown]
	v_sub_f16_e32 v4, v19, v30
	v_pack_b32_f16 v6, v29, v35
	v_pack_b32_f16 v7, v10, v26
	v_fma_f16 v19, v19, 2.0, -v4
	s_waitcnt lgkmcnt(0)
	s_barrier
	ds_write2_b32 v31, v6, v7 offset1:1
	v_pack_b32_f16 v6, v24, v32
	v_pack_b32_f16 v7, v18, v27
	ds_write2_b32 v33, v6, v7 offset1:1
	s_and_saveexec_b64 s[4:5], s[2:3]
	s_cbranch_execz .LBB0_19
; %bb.18:
	s_mov_b32 s2, 0x5040100
	v_perm_b32 v4, v4, v8, s2
	v_perm_b32 v6, v19, v17, s2
	ds_write2_b32 v28, v6, v4 offset1:1
.LBB0_19:
	s_or_b64 exec, exec, s[4:5]
	s_waitcnt lgkmcnt(0)
	s_barrier
	ds_read_u16 v26, v1
	ds_read_u16 v27, v1 offset:352
	ds_read_u16 v28, v1 offset:704
	;; [unrolled: 1-line block ×7, first 2 shown]
	s_and_saveexec_b64 s[2:3], vcc
	s_cbranch_execz .LBB0_21
; %bb.20:
	ds_read_u16 v17, v1 offset:1408
	ds_read_u16 v19, v1 offset:2992
.LBB0_21:
	s_or_b64 exec, exec, s[2:3]
	v_and_b32_e32 v29, 3, v0
	v_lshlrev_b32_e32 v4, 2, v29
	global_load_dword v35, v4, s[8:9]
	v_lshlrev_b32_e32 v4, 1, v0
	s_movk_i32 s2, 0x1f8
	s_movk_i32 s4, 0x7f8
	v_and_or_b32 v10, v4, s2, v29
	v_add_u32_e32 v18, 0x420, v4
	v_lshlrev_b32_e32 v6, 1, v25
	s_movk_i32 s3, 0x3f8
	v_lshlrev_b32_e32 v7, 1, v11
	v_lshl_add_u32 v42, v10, 1, 0
	v_and_or_b32 v10, v18, s4, v29
	v_and_or_b32 v24, v6, s3, v29
	;; [unrolled: 1-line block ×3, first 2 shown]
	v_lshl_add_u32 v43, v10, 1, 0
	v_lshl_add_u32 v41, v24, 1, 0
	;; [unrolled: 1-line block ×3, first 2 shown]
	v_add_u32_e32 v36, 0x2c0, v0
	s_waitcnt vmcnt(0) lgkmcnt(0)
	s_barrier
	v_mul_f16_sdwa v10, v34, v35 dst_sel:DWORD dst_unused:UNUSED_PAD src0_sel:DWORD src1_sel:WORD_1
	v_mul_f16_sdwa v39, v19, v35 dst_sel:DWORD dst_unused:UNUSED_PAD src0_sel:DWORD src1_sel:WORD_1
	;; [unrolled: 1-line block ×5, first 2 shown]
	v_fma_f16 v10, v16, v35, v10
	v_fma_f16 v39, v12, v35, v39
	;; [unrolled: 1-line block ×5, first 2 shown]
	v_sub_f16_e32 v40, v20, v10
	v_sub_f16_e32 v10, v9, v39
	;; [unrolled: 1-line block ×5, first 2 shown]
	v_fma_f16 v20, v20, 2.0, -v40
	v_fma_f16 v24, v9, 2.0, -v10
	v_lshlrev_b32_e32 v9, 1, v36
	ds_write_b16 v42, v40 offset:8
	v_fma_f16 v21, v21, 2.0, -v44
	v_fma_f16 v22, v22, 2.0, -v25
	;; [unrolled: 1-line block ×3, first 2 shown]
	ds_write_b16 v42, v20
	ds_write_b16 v41, v21
	ds_write_b16 v41, v44 offset:8
	ds_write_b16 v37, v22
	ds_write_b16 v37, v25 offset:8
	;; [unrolled: 2-line block ×3, first 2 shown]
	s_and_saveexec_b64 s[2:3], vcc
	s_cbranch_execz .LBB0_23
; %bb.22:
	v_and_or_b32 v20, v9, s4, v29
	v_lshl_add_u32 v20, v20, 1, 0
	ds_write_b16 v20, v24
	ds_write_b16 v20, v10 offset:8
.LBB0_23:
	s_or_b64 exec, exec, s[2:3]
	s_waitcnt lgkmcnt(0)
	s_barrier
	ds_read_u16 v36, v1
	ds_read_u16 v38, v1 offset:352
	ds_read_u16 v39, v1 offset:704
	;; [unrolled: 1-line block ×7, first 2 shown]
	s_and_saveexec_b64 s[2:3], vcc
	s_cbranch_execz .LBB0_25
; %bb.24:
	ds_read_u16 v24, v1 offset:1408
	ds_read_u16 v10, v1 offset:2992
.LBB0_25:
	s_or_b64 exec, exec, s[2:3]
	v_mul_f16_sdwa v15, v15, v35 dst_sel:DWORD dst_unused:UNUSED_PAD src0_sel:DWORD src1_sel:WORD_1
	v_mul_f16_sdwa v16, v16, v35 dst_sel:DWORD dst_unused:UNUSED_PAD src0_sel:DWORD src1_sel:WORD_1
	v_fma_f16 v15, v33, v35, -v15
	v_mul_f16_sdwa v12, v12, v35 dst_sel:DWORD dst_unused:UNUSED_PAD src0_sel:DWORD src1_sel:WORD_1
	v_fma_f16 v16, v34, v35, -v16
	v_mul_f16_sdwa v13, v13, v35 dst_sel:DWORD dst_unused:UNUSED_PAD src0_sel:DWORD src1_sel:WORD_1
	v_mul_f16_sdwa v14, v14, v35 dst_sel:DWORD dst_unused:UNUSED_PAD src0_sel:DWORD src1_sel:WORD_1
	v_fma_f16 v12, v19, v35, -v12
	v_sub_f16_e32 v15, v27, v15
	v_fma_f16 v13, v31, v35, -v13
	v_fma_f16 v14, v32, v35, -v14
	v_sub_f16_e32 v16, v26, v16
	v_fma_f16 v21, v27, 2.0, -v15
	v_sub_f16_e32 v27, v17, v12
	v_fma_f16 v19, v26, 2.0, -v16
	v_sub_f16_e32 v13, v28, v13
	v_sub_f16_e32 v14, v30, v14
	v_fma_f16 v26, v17, 2.0, -v27
	v_fma_f16 v28, v28, 2.0, -v13
	;; [unrolled: 1-line block ×3, first 2 shown]
	s_waitcnt lgkmcnt(0)
	s_barrier
	ds_write_b16 v42, v19
	ds_write_b16 v42, v16 offset:8
	ds_write_b16 v41, v21
	ds_write_b16 v41, v15 offset:8
	;; [unrolled: 2-line block ×4, first 2 shown]
	s_and_saveexec_b64 s[2:3], vcc
	s_cbranch_execz .LBB0_27
; %bb.26:
	v_and_or_b32 v12, v9, s4, v29
	v_lshl_add_u32 v12, v12, 1, 0
	ds_write_b16 v12, v26
	ds_write_b16 v12, v27 offset:8
.LBB0_27:
	s_or_b64 exec, exec, s[2:3]
	s_waitcnt lgkmcnt(0)
	s_barrier
	ds_read_u16 v28, v1
	ds_read_u16 v29, v1 offset:352
	ds_read_u16 v30, v1 offset:704
	;; [unrolled: 1-line block ×7, first 2 shown]
	s_and_saveexec_b64 s[2:3], vcc
	s_cbranch_execz .LBB0_29
; %bb.28:
	ds_read_u16 v26, v1 offset:1408
	ds_read_u16 v27, v1 offset:2992
.LBB0_29:
	s_or_b64 exec, exec, s[2:3]
	v_and_b32_e32 v31, 7, v0
	v_lshlrev_b32_e32 v12, 2, v31
	global_load_dword v41, v12, s[8:9] offset:16
	s_movk_i32 s2, 0x1f0
	s_movk_i32 s3, 0x3f0
	;; [unrolled: 1-line block ×3, first 2 shown]
	v_and_or_b32 v12, v4, s2, v31
	v_and_or_b32 v13, v6, s3, v31
	;; [unrolled: 1-line block ×4, first 2 shown]
	v_lshl_add_u32 v45, v12, 1, 0
	v_lshl_add_u32 v44, v13, 1, 0
	;; [unrolled: 1-line block ×4, first 2 shown]
	s_waitcnt vmcnt(0) lgkmcnt(0)
	s_barrier
	v_mul_f16_sdwa v12, v37, v41 dst_sel:DWORD dst_unused:UNUSED_PAD src0_sel:DWORD src1_sel:WORD_1
	v_mul_f16_sdwa v13, v35, v41 dst_sel:DWORD dst_unused:UNUSED_PAD src0_sel:DWORD src1_sel:WORD_1
	;; [unrolled: 1-line block ×5, first 2 shown]
	v_fma_f16 v12, v25, v41, v12
	v_fma_f16 v13, v23, v41, v13
	;; [unrolled: 1-line block ×5, first 2 shown]
	v_sub_f16_e32 v15, v36, v12
	v_sub_f16_e32 v14, v38, v13
	;; [unrolled: 1-line block ×5, first 2 shown]
	v_fma_f16 v12, v36, 2.0, -v15
	v_fma_f16 v18, v38, 2.0, -v14
	;; [unrolled: 1-line block ×5, first 2 shown]
	ds_write_b16 v45, v15 offset:16
	ds_write_b16 v45, v12
	ds_write_b16 v44, v18
	ds_write_b16 v44, v14 offset:16
	ds_write_b16 v43, v17
	ds_write_b16 v43, v13 offset:16
	;; [unrolled: 2-line block ×3, first 2 shown]
	s_and_saveexec_b64 s[2:3], vcc
	s_cbranch_execz .LBB0_31
; %bb.30:
	v_and_or_b32 v36, v9, s4, v31
	v_lshl_add_u32 v36, v36, 1, 0
	ds_write_b16 v36, v24
	ds_write_b16 v36, v21 offset:16
.LBB0_31:
	s_or_b64 exec, exec, s[2:3]
	s_movk_i32 s2, 0x90
	v_cmp_gt_u32_e64 s[2:3], s2, v0
	s_waitcnt lgkmcnt(0)
	s_barrier
	s_and_saveexec_b64 s[4:5], s[2:3]
	s_cbranch_execz .LBB0_33
; %bb.32:
	ds_read_u16 v12, v1
	ds_read_u16 v15, v1 offset:288
	ds_read_u16 v18, v1 offset:576
	;; [unrolled: 1-line block ×10, first 2 shown]
.LBB0_33:
	s_or_b64 exec, exec, s[4:5]
	v_mul_f16_sdwa v25, v25, v41 dst_sel:DWORD dst_unused:UNUSED_PAD src0_sel:DWORD src1_sel:WORD_1
	v_mul_f16_sdwa v23, v23, v41 dst_sel:DWORD dst_unused:UNUSED_PAD src0_sel:DWORD src1_sel:WORD_1
	;; [unrolled: 1-line block ×5, first 2 shown]
	v_fma_f16 v25, v37, v41, -v25
	v_fma_f16 v23, v35, v41, -v23
	;; [unrolled: 1-line block ×5, first 2 shown]
	v_sub_f16_e32 v22, v28, v25
	v_sub_f16_e32 v23, v29, v23
	v_sub_f16_e32 v27, v30, v20
	v_sub_f16_e32 v20, v32, v34
	v_sub_f16_e32 v25, v26, v35
	v_fma_f16 v10, v28, 2.0, -v22
	v_fma_f16 v29, v29, 2.0, -v23
	;; [unrolled: 1-line block ×5, first 2 shown]
	s_waitcnt lgkmcnt(0)
	s_barrier
	ds_write_b16 v45, v10
	ds_write_b16 v45, v22 offset:16
	ds_write_b16 v44, v29
	ds_write_b16 v44, v23 offset:16
	ds_write_b16 v43, v33
	ds_write_b16 v43, v27 offset:16
	ds_write_b16 v42, v32
	ds_write_b16 v42, v20 offset:16
	s_and_saveexec_b64 s[4:5], vcc
	s_cbranch_execz .LBB0_35
; %bb.34:
	s_movk_i32 s6, 0x7f0
	v_and_or_b32 v9, v9, s6, v31
	v_lshl_add_u32 v9, v9, 1, 0
	ds_write_b16 v9, v30
	ds_write_b16 v9, v25 offset:16
.LBB0_35:
	s_or_b64 exec, exec, s[4:5]
	s_waitcnt lgkmcnt(0)
	s_barrier
	s_and_saveexec_b64 s[4:5], s[2:3]
	s_cbranch_execz .LBB0_37
; %bb.36:
	ds_read_u16 v10, v1
	ds_read_u16 v22, v1 offset:288
	ds_read_u16 v29, v1 offset:576
	;; [unrolled: 1-line block ×10, first 2 shown]
.LBB0_37:
	s_or_b64 exec, exec, s[4:5]
	v_and_b32_e32 v9, 15, v0
	v_mul_u32_u24_e32 v26, 10, v9
	v_lshlrev_b32_e32 v26, 2, v26
	global_load_dwordx4 v[37:40], v26, s[8:9] offset:48
	global_load_dwordx4 v[41:44], v26, s[8:9] offset:64
	global_load_dwordx2 v[45:46], v26, s[8:9] offset:80
	s_waitcnt vmcnt(0) lgkmcnt(0)
	s_barrier
	v_mul_f16_sdwa v26, v22, v37 dst_sel:DWORD dst_unused:UNUSED_PAD src0_sel:DWORD src1_sel:WORD_1
	v_mul_f16_sdwa v28, v15, v37 dst_sel:DWORD dst_unused:UNUSED_PAD src0_sel:DWORD src1_sel:WORD_1
	;; [unrolled: 1-line block ×20, first 2 shown]
	v_fma_f16 v36, v15, v37, v26
	v_fma_f16 v37, v22, v37, -v28
	v_fma_f16 v28, v18, v38, v31
	v_fma_f16 v29, v29, v38, -v34
	;; [unrolled: 2-line block ×10, first 2 shown]
	v_lshrrev_b32_e32 v5, 4, v0
	s_and_saveexec_b64 s[4:5], s[2:3]
	s_cbranch_execz .LBB0_39
; %bb.38:
	v_sub_f16_e32 v21, v37, v39
	v_add_f16_e32 v8, v36, v38
	v_mul_f16_e32 v24, 0xb482, v21
	s_mov_b32 s6, 0xbbad
	v_sub_f16_e32 v31, v29, v35
	v_fma_f16 v25, v8, s6, -v24
	v_add_f16_e32 v30, v28, v33
	v_mul_f16_e32 v32, 0x3853, v31
	s_movk_i32 s7, 0x3abb
	v_add_f16_e32 v25, v12, v25
	v_fma_f16 v34, v30, s7, -v32
	v_sub_f16_e32 v40, v23, v27
	v_add_f16_e32 v25, v34, v25
	v_add_f16_e32 v34, v22, v26
	v_mul_f16_e32 v41, 0xba0c, v40
	s_mov_b32 s10, 0xb93d
	v_fma_f16 v42, v34, s10, -v41
	v_sub_f16_e32 v43, v18, v20
	v_fma_f16 v24, v8, s6, v24
	v_add_f16_e32 v25, v42, v25
	v_add_f16_e32 v42, v17, v19
	v_mul_f16_e32 v44, 0x3b47, v43
	s_movk_i32 s11, 0x36a6
	v_add_f16_e32 v24, v12, v24
	v_fma_f16 v32, v30, s7, v32
	v_fma_f16 v45, v42, s11, -v44
	v_sub_f16_e32 v46, v14, v16
	v_add_f16_e32 v24, v32, v24
	v_fma_f16 v32, v34, s10, v41
	v_add_f16_e32 v25, v45, v25
	v_add_f16_e32 v45, v13, v15
	s_mov_b32 s14, 0xb08e
	v_mul_f16_e32 v47, 0xbbeb, v46
	v_add_f16_e32 v24, v32, v24
	v_fma_f16 v32, v42, s11, v44
	v_add_f16_e32 v24, v32, v24
	v_fma_f16 v32, v45, s14, v47
	v_add_f16_e32 v24, v32, v24
	v_mul_f16_e32 v32, 0xba0c, v21
	v_fma_f16 v41, v8, s10, -v32
	v_mul_f16_e32 v44, 0x3beb, v31
	v_fma_f16 v48, v45, s14, -v47
	v_add_f16_e32 v41, v12, v41
	v_fma_f16 v47, v30, s14, -v44
	v_add_f16_e32 v41, v47, v41
	v_mul_f16_e32 v47, 0xb853, v40
	v_add_f16_e32 v25, v48, v25
	v_fma_f16 v48, v34, s7, -v47
	v_fma_f16 v32, v8, s10, v32
	v_add_f16_e32 v41, v48, v41
	v_mul_f16_e32 v48, 0xb482, v43
	v_add_f16_e32 v32, v12, v32
	v_fma_f16 v44, v30, s14, v44
	v_fma_f16 v49, v42, s6, -v48
	v_add_f16_e32 v32, v44, v32
	v_fma_f16 v44, v34, s7, v47
	v_add_f16_e32 v41, v49, v41
	v_mul_f16_e32 v49, 0x3b47, v46
	v_add_f16_e32 v32, v44, v32
	v_fma_f16 v44, v42, s6, v48
	v_add_f16_e32 v32, v44, v32
	v_fma_f16 v44, v45, s11, v49
	v_add_f16_e32 v32, v44, v32
	v_mul_f16_e32 v44, 0xbbeb, v21
	v_fma_f16 v47, v8, s14, -v44
	v_mul_f16_e32 v48, 0x3482, v31
	v_fma_f16 v50, v45, s11, -v49
	v_add_f16_e32 v47, v12, v47
	v_fma_f16 v49, v30, s6, -v48
	v_add_f16_e32 v47, v49, v47
	v_mul_f16_e32 v49, 0x3b47, v40
	v_add_f16_e32 v41, v50, v41
	v_fma_f16 v50, v34, s11, -v49
	v_fma_f16 v44, v8, s14, v44
	v_add_f16_e32 v47, v50, v47
	v_mul_f16_e32 v50, 0xb853, v43
	v_add_f16_e32 v44, v12, v44
	v_fma_f16 v48, v30, s6, v48
	v_fma_f16 v51, v42, s7, -v50
	v_add_f16_e32 v44, v48, v44
	v_fma_f16 v48, v34, s11, v49
	v_add_f16_e32 v47, v51, v47
	;; [unrolled: 25-line block ×3, first 2 shown]
	v_mul_f16_e32 v53, 0x3853, v46
	v_add_f16_e32 v48, v50, v48
	v_fma_f16 v50, v42, s14, v52
	v_add_f16_e32 v48, v50, v48
	v_fma_f16 v50, v45, s7, v53
	v_mul_f16_e32 v21, 0xb853, v21
	v_add_f16_e32 v48, v50, v48
	v_fma_f16 v50, v8, s7, -v21
	v_fma_f16 v8, v8, s7, v21
	v_add_f16_e32 v50, v12, v50
	v_add_f16_e32 v8, v12, v8
	;; [unrolled: 1-line block ×4, first 2 shown]
	v_mul_f16_e32 v31, 0xbb47, v31
	v_add_f16_e32 v12, v12, v22
	v_mul_f16_e32 v40, 0xbbeb, v40
	v_fma_f16 v21, v30, s11, v31
	v_add_f16_e32 v12, v12, v17
	v_mul_f16_e32 v43, 0xba0c, v43
	v_add_f16_e32 v8, v21, v8
	v_fma_f16 v21, v34, s14, v40
	v_add_f16_e32 v12, v12, v13
	v_mul_f16_e32 v46, 0xb482, v46
	v_add_f16_e32 v8, v21, v8
	v_add_f16_e32 v12, v12, v15
	v_fma_f16 v21, v42, s10, v43
	v_fma_f16 v51, v30, s11, -v31
	v_add_f16_e32 v12, v12, v19
	v_add_f16_e32 v8, v21, v8
	v_fma_f16 v21, v45, s6, v46
	v_add_f16_e32 v50, v51, v50
	v_fma_f16 v51, v34, s14, -v40
	v_add_f16_e32 v12, v12, v26
	v_add_f16_e32 v8, v21, v8
	v_mul_u32_u24_e32 v21, 0xb0, v5
	v_add_f16_e32 v50, v51, v50
	v_fma_f16 v51, v42, s10, -v43
	v_add_f16_e32 v12, v12, v33
	v_or_b32_e32 v21, v21, v9
	v_fma_f16 v54, v45, s7, -v53
	v_add_f16_e32 v50, v51, v50
	v_fma_f16 v51, v45, s6, -v46
	v_add_f16_e32 v12, v12, v38
	v_lshl_add_u32 v21, v21, 1, 0
	v_add_f16_e32 v49, v54, v49
	v_add_f16_e32 v50, v51, v50
	ds_write_b16 v21, v12
	ds_write_b16 v21, v8 offset:32
	ds_write_b16 v21, v48 offset:64
	;; [unrolled: 1-line block ×10, first 2 shown]
.LBB0_39:
	s_or_b64 exec, exec, s[4:5]
	s_waitcnt lgkmcnt(0)
	s_barrier
	ds_read_u16 v21, v1
	ds_read_u16 v12, v1 offset:352
	ds_read_u16 v31, v1 offset:1408
	;; [unrolled: 1-line block ×8, first 2 shown]
	s_waitcnt lgkmcnt(0)
	s_barrier
	s_and_saveexec_b64 s[4:5], s[2:3]
	s_cbranch_execz .LBB0_41
; %bb.40:
	v_add_f16_e32 v40, v10, v37
	v_add_f16_e32 v40, v40, v29
	v_add_f16_e32 v40, v40, v23
	v_add_f16_e32 v40, v40, v18
	v_add_f16_e32 v40, v40, v14
	v_add_f16_e32 v40, v40, v16
	v_add_f16_e32 v40, v40, v20
	v_add_f16_e32 v40, v40, v27
	v_add_f16_e32 v37, v37, v39
	v_add_f16_e32 v40, v40, v35
	v_sub_f16_e32 v36, v36, v38
	v_mul_f16_e32 v38, 0x3abb, v37
	s_movk_i32 s2, 0x3853
	s_mov_b32 s3, 0xb853
	v_mul_f16_e32 v41, 0x36a6, v37
	s_movk_i32 s6, 0x3b47
	s_mov_b32 s7, 0xbb47
	;; [unrolled: 3-line block ×5, first 2 shown]
	v_add_f16_e32 v29, v29, v35
	v_add_f16_e32 v40, v40, v39
	v_fma_f16 v39, v36, s2, v38
	v_fma_f16 v38, v36, s3, v38
	;; [unrolled: 1-line block ×10, first 2 shown]
	v_sub_f16_e32 v28, v28, v33
	v_mul_f16_e32 v33, 0x36a6, v29
	v_add_f16_e32 v39, v10, v39
	v_add_f16_e32 v38, v10, v38
	;; [unrolled: 1-line block ×10, first 2 shown]
	v_fma_f16 v35, v28, s6, v33
	v_fma_f16 v33, v28, s7, v33
	v_mul_f16_e32 v36, 0xb93d, v29
	v_add_f16_e32 v33, v33, v38
	v_fma_f16 v37, v28, s14, v36
	v_fma_f16 v36, v28, s15, v36
	v_mul_f16_e32 v38, 0xbbad, v29
	v_add_f16_e32 v35, v35, v39
	v_add_f16_e32 v36, v36, v41
	v_fma_f16 v39, v28, s17, v38
	v_fma_f16 v38, v28, s16, v38
	v_mul_f16_e32 v41, 0xb08e, v29
	v_mul_f16_e32 v29, 0x3abb, v29
	v_add_f16_e32 v23, v23, v27
	v_add_f16_e32 v37, v37, v42
	v_add_f16_e32 v38, v38, v43
	v_fma_f16 v42, v28, s11, v41
	v_fma_f16 v41, v28, s10, v41
	v_fma_f16 v43, v28, s3, v29
	v_fma_f16 v28, v28, s2, v29
	v_sub_f16_e32 v22, v22, v26
	v_mul_f16_e32 v26, 0xb08e, v23
	v_add_f16_e32 v10, v28, v10
	v_fma_f16 v27, v22, s10, v26
	v_fma_f16 v26, v22, s11, v26
	v_mul_f16_e32 v28, 0xbbad, v23
	v_add_f16_e32 v26, v26, v33
	v_fma_f16 v29, v22, s17, v28
	v_fma_f16 v28, v22, s16, v28
	v_mul_f16_e32 v33, 0x36a6, v23
	v_add_f16_e32 v27, v27, v35
	v_add_f16_e32 v28, v28, v36
	v_fma_f16 v35, v22, s7, v33
	v_fma_f16 v33, v22, s6, v33
	v_mul_f16_e32 v36, 0x3abb, v23
	v_mul_f16_e32 v23, 0xb93d, v23
	v_add_f16_e32 v18, v18, v20
	v_add_f16_e32 v29, v29, v37
	v_add_f16_e32 v33, v33, v38
	v_fma_f16 v37, v22, s2, v36
	v_fma_f16 v36, v22, s3, v36
	v_fma_f16 v38, v22, s14, v23
	v_fma_f16 v22, v22, s15, v23
	v_sub_f16_e32 v17, v17, v19
	v_mul_f16_e32 v19, 0xb93d, v18
	v_add_f16_e32 v10, v22, v10
	;; [unrolled: 23-line block ×3, first 2 shown]
	v_fma_f16 v16, v13, s16, v15
	v_fma_f16 v15, v13, s17, v15
	v_mul_f16_e32 v17, 0x3abb, v14
	v_add_f16_e32 v39, v39, v44
	v_add_f16_e32 v42, v42, v46
	;; [unrolled: 1-line block ×5, first 2 shown]
	v_fma_f16 v18, v13, s3, v17
	v_fma_f16 v17, v13, s2, v17
	v_mul_f16_e32 v19, 0xb93d, v14
	v_mul_u32_u24_e32 v5, 0xb0, v5
	v_add_f16_e32 v35, v35, v39
	v_add_f16_e32 v37, v37, v42
	;; [unrolled: 1-line block ×6, first 2 shown]
	v_fma_f16 v20, v13, s14, v19
	v_fma_f16 v19, v13, s15, v19
	v_mul_f16_e32 v22, 0x36a6, v14
	v_mul_f16_e32 v14, 0xb08e, v14
	v_or_b32_e32 v5, v5, v9
	v_add_f16_e32 v27, v27, v35
	v_add_f16_e32 v29, v29, v37
	;; [unrolled: 1-line block ×6, first 2 shown]
	v_fma_f16 v23, v13, s7, v22
	v_fma_f16 v22, v13, s6, v22
	;; [unrolled: 1-line block ×4, first 2 shown]
	v_lshl_add_u32 v5, v5, 1, 0
	v_add_f16_e32 v20, v20, v27
	v_add_f16_e32 v23, v23, v29
	;; [unrolled: 1-line block ×5, first 2 shown]
	ds_write_b16 v5, v40
	ds_write_b16 v5, v16 offset:32
	ds_write_b16 v5, v18 offset:64
	;; [unrolled: 1-line block ×10, first 2 shown]
.LBB0_41:
	s_or_b64 exec, exec, s[4:5]
	v_mov_b32_e32 v5, 0
	v_lshlrev_b64 v[9:10], 2, v[4:5]
	v_mov_b32_e32 v4, s9
	v_add_co_u32_e32 v9, vcc, s8, v9
	s_mov_b32 s2, 0xba2f
	v_addc_co_u32_e32 v10, vcc, v4, v10, vcc
	v_mul_u32_u24_sdwa v4, v11, s2 dst_sel:DWORD dst_unused:UNUSED_PAD src0_sel:WORD_0 src1_sel:DWORD
	v_lshrrev_b32_e32 v4, 23, v4
	v_mul_lo_u16_e32 v4, 0xb0, v4
	v_sub_u16_e32 v4, v11, v4
	s_waitcnt lgkmcnt(0)
	s_barrier
	global_load_dwordx2 v[13:14], v[9:10], off offset:688
	v_lshlrev_b32_e32 v15, 3, v4
	global_load_dwordx2 v[15:16], v15, s[8:9] offset:688
	ds_read_u16 v17, v1
	ds_read_u16 v18, v1 offset:352
	ds_read_u16 v19, v1 offset:1408
	;; [unrolled: 1-line block ×8, first 2 shown]
	s_mov_b32 s2, 0xbaee
	s_movk_i32 s3, 0x3aee
	s_waitcnt vmcnt(0) lgkmcnt(0)
	s_barrier
	v_mul_f16_sdwa v29, v26, v13 dst_sel:DWORD dst_unused:UNUSED_PAD src0_sel:DWORD src1_sel:WORD_1
	v_mul_f16_sdwa v33, v34, v13 dst_sel:DWORD dst_unused:UNUSED_PAD src0_sel:DWORD src1_sel:WORD_1
	;; [unrolled: 1-line block ×8, first 2 shown]
	v_fma_f16 v29, v34, v13, v29
	v_fma_f16 v26, v26, v13, -v33
	v_fma_f16 v32, v32, v14, v35
	v_fma_f16 v22, v22, v14, -v36
	;; [unrolled: 2-line block ×4, first 2 shown]
	v_mul_f16_sdwa v20, v23, v15 dst_sel:DWORD dst_unused:UNUSED_PAD src0_sel:DWORD src1_sel:WORD_1
	v_mul_f16_sdwa v30, v24, v15 dst_sel:DWORD dst_unused:UNUSED_PAD src0_sel:DWORD src1_sel:WORD_1
	;; [unrolled: 1-line block ×4, first 2 shown]
	v_add_f16_e32 v36, v29, v32
	v_sub_f16_e32 v37, v26, v22
	v_add_f16_e32 v38, v17, v26
	v_add_f16_e32 v26, v26, v22
	v_sub_f16_e32 v41, v13, v14
	v_add_f16_e32 v42, v18, v13
	v_add_f16_e32 v13, v13, v14
	v_fma_f16 v20, v24, v15, v20
	v_fma_f16 v15, v23, v15, -v30
	v_fma_f16 v23, v25, v16, v33
	v_add_f16_e32 v35, v21, v29
	v_sub_f16_e32 v29, v29, v32
	v_add_f16_e32 v39, v12, v31
	v_add_f16_e32 v40, v31, v19
	v_sub_f16_e32 v31, v31, v19
	v_fma_f16 v16, v28, v16, -v34
	v_fma_f16 v21, v36, -0.5, v21
	v_fma_f16 v17, v26, -0.5, v17
	v_fma_f16 v13, v13, -0.5, v18
	v_add_f16_e32 v30, v20, v23
	v_add_f16_e32 v24, v35, v32
	v_fma_f16 v12, v40, -0.5, v12
	v_add_f16_e32 v25, v42, v14
	v_fma_f16 v14, v37, s2, v21
	v_fma_f16 v18, v37, s3, v21
	;; [unrolled: 1-line block ×6, first 2 shown]
	v_add_f16_e32 v13, v8, v20
	v_sub_f16_e32 v31, v15, v16
	v_add_f16_e32 v32, v27, v15
	v_add_f16_e32 v15, v15, v16
	v_fma_f16 v8, v30, -0.5, v8
	v_add_f16_e32 v19, v39, v19
	v_fma_f16 v17, v41, s2, v12
	v_fma_f16 v12, v41, s3, v12
	v_add_f16_e32 v13, v13, v23
	v_add_f16_e32 v30, v32, v16
	v_fma_f16 v16, v31, s2, v8
	v_fma_f16 v15, v15, -0.5, v27
	v_sub_f16_e32 v20, v20, v23
	ds_write_b16 v1, v24
	ds_write_b16 v1, v14 offset:352
	ds_write_b16 v1, v18 offset:704
	;; [unrolled: 1-line block ×5, first 2 shown]
	v_lshl_add_u32 v24, v4, 1, 0
	v_fma_f16 v8, v31, s3, v8
	v_fma_f16 v23, v20, s3, v15
	v_fma_f16 v20, v20, s2, v15
	ds_write_b16 v24, v13 offset:2112
	ds_write_b16 v24, v16 offset:2464
	;; [unrolled: 1-line block ×3, first 2 shown]
	s_waitcnt lgkmcnt(0)
	s_barrier
	ds_read_u16 v4, v1
	ds_read_u16 v12, v1 offset:352
	ds_read_u16 v15, v1 offset:1408
	;; [unrolled: 1-line block ×8, first 2 shown]
	v_add_f16_e32 v22, v38, v22
	s_waitcnt lgkmcnt(0)
	s_barrier
	ds_write_b16 v1, v22
	ds_write_b16 v1, v21 offset:352
	ds_write_b16 v1, v26 offset:704
	;; [unrolled: 1-line block ×8, first 2 shown]
	s_waitcnt lgkmcnt(0)
	s_barrier
	s_and_saveexec_b64 s[4:5], s[0:1]
	s_cbranch_execz .LBB0_43
; %bb.42:
	v_mov_b32_e32 v8, v5
	v_lshlrev_b64 v[7:8], 2, v[7:8]
	v_mov_b32_e32 v22, s9
	v_add_co_u32_e32 v7, vcc, s8, v7
	v_addc_co_u32_e32 v8, vcc, v22, v8, vcc
	global_load_dwordx2 v[20:21], v[7:8], off offset:2096
	v_mov_b32_e32 v7, v5
	v_lshlrev_b64 v[6:7], 2, v[6:7]
	s_movk_i32 s0, 0x1000
	v_add_co_u32_e32 v6, vcc, s8, v6
	v_addc_co_u32_e32 v7, vcc, v22, v7, vcc
	global_load_dwordx2 v[22:23], v[6:7], off offset:2096
	global_load_dwordx2 v[24:25], v[9:10], off offset:2096
	ds_read_u16 v6, v1 offset:2816
	ds_read_u16 v7, v1 offset:2464
	;; [unrolled: 1-line block ×8, first 2 shown]
	ds_read_u16 v1, v1
	v_add_co_u32_e32 v2, vcc, s12, v2
	s_waitcnt vmcnt(2)
	v_mul_f16_sdwa v29, v18, v20 dst_sel:DWORD dst_unused:UNUSED_PAD src0_sel:DWORD src1_sel:WORD_1
	s_waitcnt lgkmcnt(5)
	v_mul_f16_sdwa v31, v9, v20 dst_sel:DWORD dst_unused:UNUSED_PAD src0_sel:DWORD src1_sel:WORD_1
	v_mul_f16_sdwa v30, v19, v21 dst_sel:DWORD dst_unused:UNUSED_PAD src0_sel:DWORD src1_sel:WORD_1
	;; [unrolled: 1-line block ×3, first 2 shown]
	v_fma_f16 v9, v9, v20, -v29
	v_fma_f16 v18, v18, v20, v31
	v_fma_f16 v6, v6, v21, -v30
	s_waitcnt vmcnt(1)
	v_mul_f16_sdwa v33, v15, v22 dst_sel:DWORD dst_unused:UNUSED_PAD src0_sel:DWORD src1_sel:WORD_1
	s_waitcnt vmcnt(0)
	v_mul_f16_sdwa v37, v17, v24 dst_sel:DWORD dst_unused:UNUSED_PAD src0_sel:DWORD src1_sel:WORD_1
	v_mul_f16_sdwa v38, v14, v25 dst_sel:DWORD dst_unused:UNUSED_PAD src0_sel:DWORD src1_sel:WORD_1
	;; [unrolled: 1-line block ×3, first 2 shown]
	s_waitcnt lgkmcnt(3)
	v_mul_f16_sdwa v39, v26, v24 dst_sel:DWORD dst_unused:UNUSED_PAD src0_sel:DWORD src1_sel:WORD_1
	v_mul_f16_sdwa v40, v8, v25 dst_sel:DWORD dst_unused:UNUSED_PAD src0_sel:DWORD src1_sel:WORD_1
	v_fma_f16 v20, v26, v24, -v37
	v_fma_f16 v8, v8, v25, -v38
	v_mul_f16_sdwa v35, v10, v22 dst_sel:DWORD dst_unused:UNUSED_PAD src0_sel:DWORD src1_sel:WORD_1
	v_mul_f16_sdwa v36, v7, v23 dst_sel:DWORD dst_unused:UNUSED_PAD src0_sel:DWORD src1_sel:WORD_1
	v_fma_f16 v19, v19, v21, v32
	v_fma_f16 v10, v10, v22, -v33
	v_fma_f16 v7, v7, v23, -v34
	v_fma_f16 v17, v17, v24, v39
	v_fma_f16 v14, v14, v25, v40
	v_add_f16_e32 v31, v20, v8
	v_fma_f16 v15, v15, v22, v35
	v_fma_f16 v16, v16, v23, v36
	v_add_f16_e32 v21, v9, v6
	v_sub_f16_e32 v22, v18, v19
	v_add_f16_e32 v23, v18, v19
	v_sub_f16_e32 v24, v9, v6
	s_waitcnt lgkmcnt(2)
	v_add_f16_e32 v9, v27, v9
	v_add_f16_e32 v18, v13, v18
	;; [unrolled: 1-line block ×3, first 2 shown]
	v_sub_f16_e32 v32, v17, v14
	v_sub_f16_e32 v34, v20, v8
	s_waitcnt lgkmcnt(0)
	v_add_f16_e32 v20, v1, v20
	v_fma_f16 v1, v31, -0.5, v1
	v_sub_f16_e32 v26, v15, v16
	v_add_f16_e32 v29, v15, v16
	v_sub_f16_e32 v30, v10, v7
	v_add_f16_e32 v10, v28, v10
	v_add_f16_e32 v15, v12, v15
	;; [unrolled: 1-line block ×3, first 2 shown]
	v_fma_f16 v13, v23, -0.5, v13
	v_add_f16_e32 v6, v9, v6
	v_add_f16_e32 v9, v18, v19
	v_fma_f16 v18, v25, -0.5, v28
	v_fma_f16 v23, v32, s2, v1
	v_fma_f16 v25, v32, s3, v1
	v_add_f16_e32 v1, v4, v17
	v_add_f16_e32 v7, v10, v7
	;; [unrolled: 1-line block ×3, first 2 shown]
	v_fma_f16 v15, v33, -0.5, v4
	v_add_f16_e32 v4, v1, v14
	v_mov_b32_e32 v1, v5
	v_mov_b32_e32 v14, s13
	v_lshlrev_b64 v[0:1], 2, v[0:1]
	v_addc_co_u32_e32 v3, vcc, v14, v3, vcc
	v_add_f16_e32 v8, v20, v8
	v_add_co_u32_e32 v0, vcc, v2, v0
	v_fma_f16 v19, v24, s3, v13
	v_fma_f16 v13, v24, s2, v13
	;; [unrolled: 1-line block ×4, first 2 shown]
	v_addc_co_u32_e32 v1, vcc, v3, v1, vcc
	v_pack_b32_f16 v2, v4, v8
	global_store_dword v[0:1], v2, off
	v_pack_b32_f16 v2, v15, v25
	global_store_dword v[0:1], v2, off offset:2112
	v_add_co_u32_e32 v2, vcc, s0, v0
	v_pack_b32_f16 v4, v24, v23
	v_addc_co_u32_e32 v3, vcc, 0, v1, vcc
	s_mov_b32 s0, 0x3e0f83e1
	v_fma_f16 v21, v21, -0.5, v27
	v_fma_f16 v12, v29, -0.5, v12
	global_store_dword v[2:3], v4, off offset:128
	v_pack_b32_f16 v4, v10, v7
	v_mul_hi_u32 v7, v11, s0
	v_fma_f16 v16, v22, s2, v21
	v_fma_f16 v20, v22, s3, v21
	;; [unrolled: 1-line block ×6, first 2 shown]
	global_store_dword v[0:1], v4, off offset:704
	v_pack_b32_f16 v4, v12, v18
	global_store_dword v[0:1], v4, off offset:2816
	v_pack_b32_f16 v4, v22, v21
	global_store_dword v[2:3], v4, off offset:832
	v_lshrrev_b32_e32 v2, 7, v7
	v_mul_u32_u24_e32 v4, 0x420, v2
	v_lshlrev_b64 v[2:3], 2, v[4:5]
	v_add_co_u32_e32 v0, vcc, v0, v2
	v_addc_co_u32_e32 v1, vcc, v1, v3, vcc
	v_pack_b32_f16 v2, v9, v6
	global_store_dword v[0:1], v2, off offset:1408
	v_pack_b32_f16 v2, v13, v20
	global_store_dword v[0:1], v2, off offset:3520
	v_add_co_u32_e32 v0, vcc, 0x1000, v0
	v_pack_b32_f16 v2, v19, v16
	v_addc_co_u32_e32 v1, vcc, 0, v1, vcc
	global_store_dword v[0:1], v2, off offset:1536
.LBB0_43:
	s_endpgm
	.section	.rodata,"a",@progbits
	.p2align	6, 0x0
	.amdhsa_kernel fft_rtc_back_len1584_factors_4_2_2_11_3_3_wgs_176_tpt_176_halfLds_half_ip_CI_unitstride_sbrr_dirReg
		.amdhsa_group_segment_fixed_size 0
		.amdhsa_private_segment_fixed_size 0
		.amdhsa_kernarg_size 88
		.amdhsa_user_sgpr_count 6
		.amdhsa_user_sgpr_private_segment_buffer 1
		.amdhsa_user_sgpr_dispatch_ptr 0
		.amdhsa_user_sgpr_queue_ptr 0
		.amdhsa_user_sgpr_kernarg_segment_ptr 1
		.amdhsa_user_sgpr_dispatch_id 0
		.amdhsa_user_sgpr_flat_scratch_init 0
		.amdhsa_user_sgpr_private_segment_size 0
		.amdhsa_uses_dynamic_stack 0
		.amdhsa_system_sgpr_private_segment_wavefront_offset 0
		.amdhsa_system_sgpr_workgroup_id_x 1
		.amdhsa_system_sgpr_workgroup_id_y 0
		.amdhsa_system_sgpr_workgroup_id_z 0
		.amdhsa_system_sgpr_workgroup_info 0
		.amdhsa_system_vgpr_workitem_id 0
		.amdhsa_next_free_vgpr 62
		.amdhsa_next_free_sgpr 22
		.amdhsa_reserve_vcc 1
		.amdhsa_reserve_flat_scratch 0
		.amdhsa_float_round_mode_32 0
		.amdhsa_float_round_mode_16_64 0
		.amdhsa_float_denorm_mode_32 3
		.amdhsa_float_denorm_mode_16_64 3
		.amdhsa_dx10_clamp 1
		.amdhsa_ieee_mode 1
		.amdhsa_fp16_overflow 0
		.amdhsa_exception_fp_ieee_invalid_op 0
		.amdhsa_exception_fp_denorm_src 0
		.amdhsa_exception_fp_ieee_div_zero 0
		.amdhsa_exception_fp_ieee_overflow 0
		.amdhsa_exception_fp_ieee_underflow 0
		.amdhsa_exception_fp_ieee_inexact 0
		.amdhsa_exception_int_div_zero 0
	.end_amdhsa_kernel
	.text
.Lfunc_end0:
	.size	fft_rtc_back_len1584_factors_4_2_2_11_3_3_wgs_176_tpt_176_halfLds_half_ip_CI_unitstride_sbrr_dirReg, .Lfunc_end0-fft_rtc_back_len1584_factors_4_2_2_11_3_3_wgs_176_tpt_176_halfLds_half_ip_CI_unitstride_sbrr_dirReg
                                        ; -- End function
	.section	.AMDGPU.csdata,"",@progbits
; Kernel info:
; codeLenInByte = 8080
; NumSgprs: 26
; NumVgprs: 62
; ScratchSize: 0
; MemoryBound: 0
; FloatMode: 240
; IeeeMode: 1
; LDSByteSize: 0 bytes/workgroup (compile time only)
; SGPRBlocks: 3
; VGPRBlocks: 15
; NumSGPRsForWavesPerEU: 26
; NumVGPRsForWavesPerEU: 62
; Occupancy: 4
; WaveLimiterHint : 1
; COMPUTE_PGM_RSRC2:SCRATCH_EN: 0
; COMPUTE_PGM_RSRC2:USER_SGPR: 6
; COMPUTE_PGM_RSRC2:TRAP_HANDLER: 0
; COMPUTE_PGM_RSRC2:TGID_X_EN: 1
; COMPUTE_PGM_RSRC2:TGID_Y_EN: 0
; COMPUTE_PGM_RSRC2:TGID_Z_EN: 0
; COMPUTE_PGM_RSRC2:TIDIG_COMP_CNT: 0
	.type	__hip_cuid_91a60ca360b01e3,@object ; @__hip_cuid_91a60ca360b01e3
	.section	.bss,"aw",@nobits
	.globl	__hip_cuid_91a60ca360b01e3
__hip_cuid_91a60ca360b01e3:
	.byte	0                               ; 0x0
	.size	__hip_cuid_91a60ca360b01e3, 1

	.ident	"AMD clang version 19.0.0git (https://github.com/RadeonOpenCompute/llvm-project roc-6.4.0 25133 c7fe45cf4b819c5991fe208aaa96edf142730f1d)"
	.section	".note.GNU-stack","",@progbits
	.addrsig
	.addrsig_sym __hip_cuid_91a60ca360b01e3
	.amdgpu_metadata
---
amdhsa.kernels:
  - .args:
      - .actual_access:  read_only
        .address_space:  global
        .offset:         0
        .size:           8
        .value_kind:     global_buffer
      - .offset:         8
        .size:           8
        .value_kind:     by_value
      - .actual_access:  read_only
        .address_space:  global
        .offset:         16
        .size:           8
        .value_kind:     global_buffer
      - .actual_access:  read_only
        .address_space:  global
        .offset:         24
        .size:           8
        .value_kind:     global_buffer
      - .offset:         32
        .size:           8
        .value_kind:     by_value
      - .actual_access:  read_only
        .address_space:  global
        .offset:         40
        .size:           8
        .value_kind:     global_buffer
      - .actual_access:  read_only
        .address_space:  global
        .offset:         48
        .size:           8
        .value_kind:     global_buffer
      - .offset:         56
        .size:           4
        .value_kind:     by_value
      - .actual_access:  read_only
        .address_space:  global
        .offset:         64
        .size:           8
        .value_kind:     global_buffer
      - .actual_access:  read_only
        .address_space:  global
        .offset:         72
        .size:           8
        .value_kind:     global_buffer
      - .address_space:  global
        .offset:         80
        .size:           8
        .value_kind:     global_buffer
    .group_segment_fixed_size: 0
    .kernarg_segment_align: 8
    .kernarg_segment_size: 88
    .language:       OpenCL C
    .language_version:
      - 2
      - 0
    .max_flat_workgroup_size: 176
    .name:           fft_rtc_back_len1584_factors_4_2_2_11_3_3_wgs_176_tpt_176_halfLds_half_ip_CI_unitstride_sbrr_dirReg
    .private_segment_fixed_size: 0
    .sgpr_count:     26
    .sgpr_spill_count: 0
    .symbol:         fft_rtc_back_len1584_factors_4_2_2_11_3_3_wgs_176_tpt_176_halfLds_half_ip_CI_unitstride_sbrr_dirReg.kd
    .uniform_work_group_size: 1
    .uses_dynamic_stack: false
    .vgpr_count:     62
    .vgpr_spill_count: 0
    .wavefront_size: 64
amdhsa.target:   amdgcn-amd-amdhsa--gfx906
amdhsa.version:
  - 1
  - 2
...

	.end_amdgpu_metadata
